;; amdgpu-corpus repo=ROCm/rocFFT kind=compiled arch=gfx1030 opt=O3
	.text
	.amdgcn_target "amdgcn-amd-amdhsa--gfx1030"
	.amdhsa_code_object_version 6
	.protected	bluestein_single_back_len24_dim1_dp_op_CI_CI ; -- Begin function bluestein_single_back_len24_dim1_dp_op_CI_CI
	.globl	bluestein_single_back_len24_dim1_dp_op_CI_CI
	.p2align	8
	.type	bluestein_single_back_len24_dim1_dp_op_CI_CI,@function
bluestein_single_back_len24_dim1_dp_op_CI_CI: ; @bluestein_single_back_len24_dim1_dp_op_CI_CI
; %bb.0:
	s_load_dwordx4 s[0:3], s[4:5], 0x28
	v_lshrrev_b32_e32 v1, 3, v0
	v_mov_b32_e32 v41, 0
	v_lshl_or_b32 v40, s6, 5, v1
	s_waitcnt lgkmcnt(0)
	v_cmp_gt_u64_e32 vcc_lo, s[0:1], v[40:41]
	s_and_saveexec_b32 s0, vcc_lo
	s_cbranch_execz .LBB0_15
; %bb.1:
	s_clause 0x1
	s_load_dwordx2 s[12:13], s[4:5], 0x0
	s_load_dwordx2 s[6:7], s[4:5], 0x38
	v_and_b32_e32 v42, 7, v0
	v_mul_u32_u24_e32 v44, 24, v1
	v_cmp_gt_u32_e32 vcc_lo, 3, v42
	v_lshlrev_b32_e32 v43, 4, v42
	v_or_b32_e32 v32, v44, v42
	v_add_lshl_u32 v22, v44, v42, 4
	v_or_b32_e32 v41, 12, v42
	s_and_saveexec_b32 s1, vcc_lo
	s_cbranch_execz .LBB0_3
; %bb.2:
	s_load_dwordx2 s[8:9], s[4:5], 0x18
	s_waitcnt lgkmcnt(0)
	s_load_dwordx4 s[8:11], s[8:9], 0x0
	s_waitcnt lgkmcnt(0)
	v_mad_u64_u32 v[0:1], null, s10, v40, 0
	v_mad_u64_u32 v[2:3], null, s8, v42, 0
	s_mul_i32 s10, s9, 48
	v_mad_u64_u32 v[4:5], null, s11, v40, v[1:2]
	s_mul_hi_u32 s11, s8, 48
	s_add_i32 s11, s11, s10
	v_mad_u64_u32 v[5:6], null, s9, v42, v[3:4]
	v_mov_b32_e32 v1, v4
	v_lshlrev_b64 v[0:1], 4, v[0:1]
	v_mov_b32_e32 v3, v5
	v_mad_u64_u32 v[4:5], null, s8, v41, 0
	v_lshlrev_b64 v[2:3], 4, v[2:3]
	v_add_co_u32 v11, s0, s2, v0
	v_add_co_ci_u32_e64 v12, s0, s3, v1, s0
	s_mul_i32 s2, s8, 48
	v_add_co_u32 v20, s0, v11, v2
	v_add_co_ci_u32_e64 v21, s0, v12, v3, s0
	v_mov_b32_e32 v0, v5
	v_add_co_u32 v37, s0, v20, s2
	v_add_co_ci_u32_e64 v38, s0, s11, v21, s0
	v_mad_u64_u32 v[0:1], null, s9, v41, v[0:1]
	v_add_co_u32 v49, s0, v37, s2
	v_add_co_ci_u32_e64 v50, s0, s11, v38, s0
	v_add_co_u32 v53, s0, v49, s2
	v_add_co_ci_u32_e64 v54, s0, s11, v50, s0
	v_mov_b32_e32 v5, v0
	v_mad_u64_u32 v[57:58], null, 0x60, s8, v[53:54]
	v_lshlrev_b64 v[9:10], 4, v[4:5]
	s_clause 0x1
	global_load_dwordx4 v[0:3], v43, s[12:13]
	global_load_dwordx4 v[4:7], v43, s[12:13] offset:48
	v_add_co_u32 v27, s0, v11, v9
	v_mov_b32_e32 v8, v58
	v_add_co_ci_u32_e64 v28, s0, v12, v10, s0
	v_mad_u64_u32 v[33:34], null, 0x60, s9, v[8:9]
	s_clause 0x3
	global_load_dwordx4 v[8:11], v43, s[12:13] offset:96
	global_load_dwordx4 v[12:15], v43, s[12:13] offset:144
	;; [unrolled: 1-line block ×4, first 2 shown]
	global_load_dwordx4 v[27:30], v[27:28], off
	v_mov_b32_e32 v58, v33
	s_clause 0x1
	global_load_dwordx4 v[33:36], v[20:21], off
	global_load_dwordx4 v[45:48], v[37:38], off
	v_add_co_u32 v20, s0, v57, s2
	s_clause 0x1
	global_load_dwordx4 v[49:52], v[49:50], off
	global_load_dwordx4 v[53:56], v[53:54], off
	v_add_co_ci_u32_e64 v21, s0, s11, v58, s0
	v_add_co_u32 v37, s0, v20, s2
	v_add_co_ci_u32_e64 v38, s0, s11, v21, s0
	global_load_dwordx4 v[57:60], v[57:58], off
	global_load_dwordx4 v[61:64], v[20:21], off
	s_clause 0x1
	global_load_dwordx4 v[65:68], v43, s[12:13] offset:288
	global_load_dwordx4 v[69:72], v43, s[12:13] offset:336
	global_load_dwordx4 v[73:76], v[37:38], off
	s_waitcnt vmcnt(9)
	v_mul_f64 v[37:38], v[29:30], v[18:19]
	v_mul_f64 v[77:78], v[27:28], v[18:19]
	s_waitcnt vmcnt(8)
	v_mul_f64 v[20:21], v[35:36], v[2:3]
	v_mul_f64 v[2:3], v[33:34], v[2:3]
	;; [unrolled: 3-line block ×8, first 2 shown]
	v_fma_f64 v[18:19], v[33:34], v[0:1], v[20:21]
	v_fma_f64 v[20:21], v[35:36], v[0:1], -v[2:3]
	v_fma_f64 v[0:1], v[27:28], v[16:17], v[37:38]
	v_fma_f64 v[2:3], v[29:30], v[16:17], -v[77:78]
	;; [unrolled: 2-line block ×8, first 2 shown]
	v_lshlrev_b32_e32 v12, 4, v32
	v_lshl_add_u32 v13, v44, 4, v43
	ds_write_b128 v12, v[18:21]
	ds_write_b128 v22, v[14:17] offset:48
	ds_write_b128 v13, v[4:7] offset:96
	;; [unrolled: 1-line block ×7, first 2 shown]
.LBB0_3:
	s_or_b32 exec_lo, exec_lo, s1
	s_clause 0x1
	s_load_dwordx2 s[0:1], s[4:5], 0x20
	s_load_dwordx2 s[4:5], s[4:5], 0x8
	v_lshlrev_b32_e32 v46, 4, v44
	s_waitcnt lgkmcnt(0)
	s_barrier
	buffer_gl0_inv
                                        ; implicit-def: $vgpr26_vgpr27
                                        ; implicit-def: $vgpr14_vgpr15
                                        ; implicit-def: $vgpr6_vgpr7
                                        ; implicit-def: $vgpr10_vgpr11
                                        ; implicit-def: $vgpr28_vgpr29
                                        ; implicit-def: $vgpr16_vgpr17
                                        ; implicit-def: $vgpr0_vgpr1
                                        ; implicit-def: $vgpr20_vgpr21
	s_and_saveexec_b32 s2, vcc_lo
	s_cbranch_execz .LBB0_5
; %bb.4:
	v_lshlrev_b32_e32 v0, 4, v32
	v_lshl_add_u32 v24, v42, 4, v46
	ds_read_b128 v[8:11], v0
	ds_read_b128 v[4:7], v24 offset:96
	ds_read_b128 v[0:3], v24 offset:144
	;; [unrolled: 1-line block ×7, first 2 shown]
.LBB0_5:
	s_or_b32 exec_lo, exec_lo, s2
	s_waitcnt lgkmcnt(4)
	v_add_f64 v[16:17], v[8:9], -v[16:17]
	v_add_f64 v[18:19], v[10:11], -v[18:19]
	s_waitcnt lgkmcnt(2)
	v_add_f64 v[28:29], v[4:5], -v[28:29]
	v_add_f64 v[30:31], v[6:7], -v[30:31]
	;; [unrolled: 3-line block ×4, first 2 shown]
	s_mov_b32 s2, 0x667f3bcd
	s_mov_b32 s3, 0xbfe6a09e
	;; [unrolled: 1-line block ×4, first 2 shown]
	s_barrier
	buffer_gl0_inv
	v_fma_f64 v[8:9], v[8:9], 2.0, -v[16:17]
	v_fma_f64 v[10:11], v[10:11], 2.0, -v[18:19]
	;; [unrolled: 1-line block ×6, first 2 shown]
	v_add_f64 v[33:34], v[16:17], -v[30:31]
	v_add_f64 v[35:36], v[28:29], v[18:19]
	v_fma_f64 v[28:29], v[0:1], 2.0, -v[24:25]
	v_fma_f64 v[37:38], v[2:3], 2.0, -v[26:27]
	v_add_f64 v[26:27], v[12:13], -v[26:27]
	v_add_f64 v[24:25], v[24:25], v[14:15]
	v_add_f64 v[0:1], v[8:9], -v[4:5]
	v_add_f64 v[30:31], v[10:11], -v[6:7]
	v_fma_f64 v[2:3], v[16:17], 2.0, -v[33:34]
	v_fma_f64 v[6:7], v[18:19], 2.0, -v[35:36]
	v_add_f64 v[16:17], v[20:21], -v[28:29]
	v_add_f64 v[18:19], v[22:23], -v[37:38]
	v_fma_f64 v[37:38], v[12:13], 2.0, -v[26:27]
	v_fma_f64 v[47:48], v[14:15], 2.0, -v[24:25]
	v_fma_f64 v[12:13], v[26:27], s[8:9], v[33:34]
	v_fma_f64 v[14:15], v[24:25], s[8:9], v[35:36]
	v_fma_f64 v[4:5], v[8:9], 2.0, -v[0:1]
	v_fma_f64 v[28:29], v[10:11], 2.0, -v[30:31]
	;; [unrolled: 1-line block ×4, first 2 shown]
	v_fma_f64 v[49:50], v[37:38], s[2:3], v[2:3]
	v_fma_f64 v[51:52], v[47:48], s[2:3], v[6:7]
	;; [unrolled: 1-line block ×4, first 2 shown]
	v_add_f64 v[20:21], v[0:1], -v[18:19]
	v_add_f64 v[22:23], v[30:31], v[16:17]
	v_add_f64 v[12:13], v[4:5], -v[8:9]
	v_add_f64 v[14:15], v[28:29], -v[10:11]
	v_fma_f64 v[16:17], v[47:48], s[2:3], v[49:50]
	v_fma_f64 v[18:19], v[37:38], s[8:9], v[51:52]
	v_fma_f64 v[8:9], v[33:34], 2.0, -v[24:25]
	v_fma_f64 v[10:11], v[35:36], 2.0, -v[26:27]
	v_lshlrev_b32_e32 v47, 3, v42
	s_and_saveexec_b32 s2, vcc_lo
	s_cbranch_execz .LBB0_7
; %bb.6:
	v_fma_f64 v[35:36], v[28:29], 2.0, -v[14:15]
	v_fma_f64 v[33:34], v[4:5], 2.0, -v[12:13]
	;; [unrolled: 1-line block ×6, first 2 shown]
	v_add_lshl_u32 v0, v44, v47, 4
	ds_write_b128 v0, v[8:11] offset:48
	ds_write_b128 v0, v[12:15] offset:64
	;; [unrolled: 1-line block ×4, first 2 shown]
	ds_write_b128 v0, v[33:36]
	ds_write_b128 v0, v[4:7] offset:16
	ds_write_b128 v0, v[28:31] offset:32
	;; [unrolled: 1-line block ×3, first 2 shown]
.LBB0_7:
	s_or_b32 exec_lo, exec_lo, s2
	v_lshlrev_b32_e32 v0, 5, v42
	s_load_dwordx4 s[0:3], s[0:1], 0x0
	s_waitcnt lgkmcnt(0)
	s_barrier
	buffer_gl0_inv
	s_clause 0x1
	global_load_dwordx4 v[4:7], v0, s[4:5]
	global_load_dwordx4 v[0:3], v0, s[4:5] offset:16
	v_lshlrev_b32_e32 v45, 4, v32
	ds_read_b128 v[28:31], v45 offset:128
	ds_read_b128 v[32:35], v45 offset:256
	s_mov_b32 s4, 0xe8584caa
	s_mov_b32 s5, 0x3febb67a
	;; [unrolled: 1-line block ×4, first 2 shown]
	v_lshl_add_u32 v46, v42, 4, v46
	s_waitcnt vmcnt(1) lgkmcnt(1)
	v_mul_f64 v[36:37], v[30:31], v[6:7]
	s_waitcnt vmcnt(0) lgkmcnt(0)
	v_mul_f64 v[38:39], v[34:35], v[2:3]
	v_mul_f64 v[48:49], v[28:29], v[6:7]
	;; [unrolled: 1-line block ×3, first 2 shown]
	v_fma_f64 v[36:37], v[28:29], v[4:5], -v[36:37]
	v_fma_f64 v[32:33], v[32:33], v[0:1], -v[38:39]
	v_fma_f64 v[38:39], v[30:31], v[4:5], v[48:49]
	v_fma_f64 v[34:35], v[34:35], v[0:1], v[50:51]
	ds_read_b128 v[28:31], v45
	v_add_f64 v[48:49], v[36:37], v[32:33]
	s_waitcnt lgkmcnt(0)
	v_add_f64 v[52:53], v[28:29], v[36:37]
	v_add_f64 v[50:51], v[38:39], v[34:35]
	v_add_f64 v[54:55], v[38:39], -v[34:35]
	v_add_f64 v[38:39], v[30:31], v[38:39]
	v_add_f64 v[56:57], v[36:37], -v[32:33]
	v_fma_f64 v[48:49], v[48:49], -0.5, v[28:29]
	v_add_f64 v[28:29], v[52:53], v[32:33]
	v_fma_f64 v[50:51], v[50:51], -0.5, v[30:31]
	v_add_f64 v[30:31], v[38:39], v[34:35]
	v_fma_f64 v[36:37], v[54:55], s[4:5], v[48:49]
	v_fma_f64 v[32:33], v[54:55], s[8:9], v[48:49]
	;; [unrolled: 1-line block ×4, first 2 shown]
	ds_write_b128 v45, v[28:31]
	ds_write_b128 v46, v[36:39] offset:128
	ds_write_b128 v46, v[32:35] offset:256
	s_waitcnt lgkmcnt(0)
	s_barrier
	buffer_gl0_inv
	s_and_saveexec_b32 s8, vcc_lo
	s_cbranch_execz .LBB0_9
; %bb.8:
	global_load_dwordx4 v[48:51], v43, s[12:13] offset:384
	s_add_u32 s4, s12, 0x180
	s_addc_u32 s5, s13, 0
	s_clause 0x6
	global_load_dwordx4 v[52:55], v43, s[4:5] offset:48
	global_load_dwordx4 v[56:59], v43, s[4:5] offset:96
	;; [unrolled: 1-line block ×7, first 2 shown]
	ds_read_b128 v[80:83], v45
	s_waitcnt vmcnt(7) lgkmcnt(0)
	v_mul_f64 v[84:85], v[82:83], v[50:51]
	v_mul_f64 v[50:51], v[80:81], v[50:51]
	v_fma_f64 v[80:81], v[80:81], v[48:49], -v[84:85]
	v_fma_f64 v[82:83], v[82:83], v[48:49], v[50:51]
	ds_write_b128 v45, v[80:83]
	ds_read_b128 v[48:51], v46 offset:48
	ds_read_b128 v[80:83], v46 offset:96
	;; [unrolled: 1-line block ×7, first 2 shown]
	s_waitcnt vmcnt(6) lgkmcnt(6)
	v_mul_f64 v[104:105], v[50:51], v[54:55]
	v_mul_f64 v[54:55], v[48:49], v[54:55]
	s_waitcnt vmcnt(5) lgkmcnt(5)
	v_mul_f64 v[106:107], v[82:83], v[58:59]
	v_mul_f64 v[58:59], v[80:81], v[58:59]
	;; [unrolled: 3-line block ×7, first 2 shown]
	v_fma_f64 v[48:49], v[48:49], v[52:53], -v[104:105]
	v_fma_f64 v[50:51], v[50:51], v[52:53], v[54:55]
	v_fma_f64 v[52:53], v[80:81], v[56:57], -v[106:107]
	v_fma_f64 v[54:55], v[82:83], v[56:57], v[58:59]
	;; [unrolled: 2-line block ×7, first 2 shown]
	ds_write_b128 v46, v[48:51] offset:48
	ds_write_b128 v46, v[52:55] offset:96
	;; [unrolled: 1-line block ×7, first 2 shown]
.LBB0_9:
	s_or_b32 exec_lo, exec_lo, s8
	s_waitcnt lgkmcnt(0)
	s_barrier
	buffer_gl0_inv
	s_and_saveexec_b32 s4, vcc_lo
	s_cbranch_execz .LBB0_11
; %bb.10:
	ds_read_b128 v[28:31], v45
	ds_read_b128 v[36:39], v46 offset:48
	ds_read_b128 v[32:35], v46 offset:96
	ds_read_b128 v[8:11], v46 offset:144
	ds_read_b128 v[12:15], v46 offset:192
	ds_read_b128 v[16:19], v46 offset:240
	ds_read_b128 v[20:23], v46 offset:288
	ds_read_b128 v[24:27], v46 offset:336
.LBB0_11:
	s_or_b32 exec_lo, exec_lo, s4
	s_waitcnt lgkmcnt(0)
	s_barrier
	buffer_gl0_inv
	s_and_saveexec_b32 s4, vcc_lo
	s_cbranch_execz .LBB0_13
; %bb.12:
	v_add_f64 v[14:15], v[30:31], -v[14:15]
	v_add_f64 v[20:21], v[32:33], -v[20:21]
	;; [unrolled: 1-line block ×8, first 2 shown]
	s_mov_b32 s8, 0x667f3bcd
	s_mov_b32 s9, 0x3fe6a09e
	;; [unrolled: 1-line block ×4, first 2 shown]
	v_add_lshl_u32 v44, v44, v47, 4
	v_fma_f64 v[30:31], v[30:31], 2.0, -v[14:15]
	v_add_f64 v[48:49], v[14:15], -v[20:21]
	v_fma_f64 v[20:21], v[32:33], 2.0, -v[20:21]
	v_add_f64 v[50:51], v[18:19], -v[24:25]
	v_fma_f64 v[34:35], v[34:35], 2.0, -v[22:23]
	v_fma_f64 v[36:37], v[36:37], 2.0, -v[16:17]
	;; [unrolled: 1-line block ×6, first 2 shown]
	v_add_f64 v[26:27], v[26:27], v[16:17]
	v_add_f64 v[32:33], v[22:23], v[12:13]
	v_fma_f64 v[38:39], v[14:15], 2.0, -v[48:49]
	v_fma_f64 v[52:53], v[18:19], 2.0, -v[50:51]
	v_add_f64 v[34:35], v[30:31], -v[34:35]
	v_add_f64 v[8:9], v[36:37], -v[8:9]
	;; [unrolled: 1-line block ×4, first 2 shown]
	v_fma_f64 v[16:17], v[16:17], 2.0, -v[26:27]
	v_fma_f64 v[56:57], v[12:13], 2.0, -v[32:33]
	v_fma_f64 v[10:11], v[50:51], s[8:9], v[48:49]
	v_fma_f64 v[20:21], v[26:27], s[8:9], v[32:33]
	;; [unrolled: 1-line block ×3, first 2 shown]
	v_fma_f64 v[58:59], v[30:31], 2.0, -v[34:35]
	v_add_f64 v[14:15], v[34:35], -v[8:9]
	v_fma_f64 v[60:61], v[24:25], 2.0, -v[54:55]
	v_fma_f64 v[24:25], v[36:37], 2.0, -v[8:9]
	;; [unrolled: 1-line block ×3, first 2 shown]
	v_add_f64 v[12:13], v[54:55], v[18:19]
	v_fma_f64 v[30:31], v[16:17], s[10:11], v[56:57]
	v_fma_f64 v[10:11], v[26:27], s[10:11], v[10:11]
	;; [unrolled: 1-line block ×4, first 2 shown]
	v_add_f64 v[20:21], v[60:61], -v[24:25]
	v_add_f64 v[22:23], v[58:59], -v[28:29]
	v_fma_f64 v[28:29], v[54:55], 2.0, -v[12:13]
	v_fma_f64 v[16:17], v[52:53], s[8:9], v[30:31]
	v_fma_f64 v[30:31], v[34:35], 2.0, -v[14:15]
	v_fma_f64 v[26:27], v[48:49], 2.0, -v[10:11]
	;; [unrolled: 1-line block ×7, first 2 shown]
	ds_write_b128 v44, v[12:15] offset:96
	ds_write_b128 v44, v[28:31] offset:32
	ds_write_b128 v44, v[24:27] offset:48
	ds_write_b128 v44, v[20:23] offset:64
	ds_write_b128 v44, v[16:19] offset:80
	ds_write_b128 v44, v[36:39]
	ds_write_b128 v44, v[32:35] offset:16
	ds_write_b128 v44, v[8:11] offset:112
.LBB0_13:
	s_or_b32 exec_lo, exec_lo, s4
	s_waitcnt lgkmcnt(0)
	s_barrier
	buffer_gl0_inv
	ds_read_b128 v[8:11], v45 offset:128
	ds_read_b128 v[12:15], v45 offset:256
	s_mov_b32 s4, 0xe8584caa
	s_mov_b32 s5, 0xbfebb67a
	;; [unrolled: 1-line block ×4, first 2 shown]
	s_waitcnt lgkmcnt(1)
	v_mul_f64 v[16:17], v[6:7], v[10:11]
	s_waitcnt lgkmcnt(0)
	v_mul_f64 v[18:19], v[2:3], v[14:15]
	v_mul_f64 v[6:7], v[6:7], v[8:9]
	;; [unrolled: 1-line block ×3, first 2 shown]
	v_fma_f64 v[8:9], v[4:5], v[8:9], v[16:17]
	v_fma_f64 v[12:13], v[0:1], v[12:13], v[18:19]
	v_fma_f64 v[4:5], v[4:5], v[10:11], -v[6:7]
	v_fma_f64 v[6:7], v[0:1], v[14:15], -v[2:3]
	ds_read_b128 v[0:3], v45
	v_add_f64 v[10:11], v[8:9], v[12:13]
	s_waitcnt lgkmcnt(0)
	v_add_f64 v[16:17], v[0:1], v[8:9]
	v_add_f64 v[14:15], v[4:5], v[6:7]
	v_add_f64 v[18:19], v[4:5], -v[6:7]
	v_add_f64 v[4:5], v[2:3], v[4:5]
	v_add_f64 v[20:21], v[8:9], -v[12:13]
	v_fma_f64 v[10:11], v[10:11], -0.5, v[0:1]
	v_add_f64 v[0:1], v[16:17], v[12:13]
	v_fma_f64 v[14:15], v[14:15], -0.5, v[2:3]
	v_add_f64 v[2:3], v[4:5], v[6:7]
	v_fma_f64 v[4:5], v[18:19], s[4:5], v[10:11]
	v_fma_f64 v[8:9], v[18:19], s[8:9], v[10:11]
	;; [unrolled: 1-line block ×4, first 2 shown]
	ds_write_b128 v45, v[0:3]
	ds_write_b128 v46, v[4:7] offset:128
	ds_write_b128 v46, v[8:11] offset:256
	s_waitcnt lgkmcnt(0)
	s_barrier
	buffer_gl0_inv
	s_and_b32 exec_lo, exec_lo, vcc_lo
	s_cbranch_execz .LBB0_15
; %bb.14:
	s_clause 0x7
	global_load_dwordx4 v[0:3], v43, s[12:13]
	global_load_dwordx4 v[4:7], v43, s[12:13] offset:48
	global_load_dwordx4 v[8:11], v43, s[12:13] offset:96
	;; [unrolled: 1-line block ×7, first 2 shown]
	v_mad_u64_u32 v[51:52], null, s2, v40, 0
	v_mad_u64_u32 v[59:60], null, s0, v42, 0
	s_mul_i32 s2, s1, 48
	s_mul_i32 s4, s0, 48
	v_mad_u64_u32 v[67:68], null, s0, v41, 0
	v_mov_b32_e32 v32, v52
	v_mov_b32_e32 v33, v60
	v_mad_u64_u32 v[43:44], null, s3, v40, v[32:33]
	v_mad_u64_u32 v[53:54], null, s1, v42, v[33:34]
	ds_read_b128 v[32:35], v45
	ds_read_b128 v[36:39], v46 offset:48
	s_mul_hi_u32 s3, s0, 48
	v_mov_b32_e32 v40, v68
	s_add_i32 s5, s3, s2
	v_mov_b32_e32 v52, v43
	ds_read_b128 v[42:45], v46 offset:96
	ds_read_b128 v[47:50], v46 offset:144
	v_mov_b32_e32 v60, v53
	v_mad_u64_u32 v[40:41], null, s1, v41, v[40:41]
	v_lshlrev_b64 v[61:62], 4, v[51:52]
	ds_read_b128 v[51:54], v46 offset:192
	ds_read_b128 v[55:58], v46 offset:240
	v_lshlrev_b64 v[69:70], 4, v[59:60]
	s_mov_b32 s2, 0x55555555
	s_mov_b32 s3, 0x3fa55555
	v_add_co_u32 v95, vcc_lo, s6, v61
	v_add_co_ci_u32_e32 v96, vcc_lo, s7, v62, vcc_lo
	ds_read_b128 v[59:62], v46 offset:288
	ds_read_b128 v[63:66], v46 offset:336
	v_add_co_u32 v69, vcc_lo, v95, v69
	v_add_co_ci_u32_e32 v70, vcc_lo, v96, v70, vcc_lo
	v_mov_b32_e32 v68, v40
	v_add_co_u32 v71, vcc_lo, v69, s4
	v_add_co_ci_u32_e32 v72, vcc_lo, s5, v70, vcc_lo
	v_add_co_u32 v73, vcc_lo, v71, s4
	v_add_co_ci_u32_e32 v74, vcc_lo, s5, v72, vcc_lo
	;; [unrolled: 2-line block ×3, first 2 shown]
	v_mad_u64_u32 v[93:94], null, 0x60, s0, v[91:92]
	s_waitcnt vmcnt(7) lgkmcnt(7)
	v_mul_f64 v[75:76], v[34:35], v[2:3]
	v_mul_f64 v[2:3], v[32:33], v[2:3]
	s_waitcnt vmcnt(6) lgkmcnt(6)
	v_mul_f64 v[77:78], v[38:39], v[6:7]
	v_mul_f64 v[6:7], v[36:37], v[6:7]
	;; [unrolled: 3-line block ×8, first 2 shown]
	v_fma_f64 v[32:33], v[32:33], v[0:1], v[75:76]
	v_fma_f64 v[2:3], v[0:1], v[34:35], -v[2:3]
	v_fma_f64 v[34:35], v[36:37], v[4:5], v[77:78]
	v_fma_f64 v[6:7], v[4:5], v[38:39], -v[6:7]
	;; [unrolled: 2-line block ×8, first 2 shown]
	v_mov_b32_e32 v0, v94
	v_mad_u64_u32 v[49:50], null, 0x60, s1, v[0:1]
	v_mul_f64 v[0:1], v[32:33], s[2:3]
	v_mul_f64 v[2:3], v[2:3], s[2:3]
	;; [unrolled: 1-line block ×16, first 2 shown]
	v_mov_b32_e32 v94, v49
	v_lshlrev_b64 v[32:33], 4, v[67:68]
	v_add_co_u32 v34, vcc_lo, v93, s4
	v_add_co_ci_u32_e32 v35, vcc_lo, s5, v94, vcc_lo
	v_add_co_u32 v32, vcc_lo, v95, v32
	v_add_co_ci_u32_e32 v33, vcc_lo, v96, v33, vcc_lo
	;; [unrolled: 2-line block ×3, first 2 shown]
	global_store_dwordx4 v[69:70], v[0:3], off
	global_store_dwordx4 v[71:72], v[4:7], off
	;; [unrolled: 1-line block ×8, first 2 shown]
.LBB0_15:
	s_endpgm
	.section	.rodata,"a",@progbits
	.p2align	6, 0x0
	.amdhsa_kernel bluestein_single_back_len24_dim1_dp_op_CI_CI
		.amdhsa_group_segment_fixed_size 12288
		.amdhsa_private_segment_fixed_size 0
		.amdhsa_kernarg_size 104
		.amdhsa_user_sgpr_count 6
		.amdhsa_user_sgpr_private_segment_buffer 1
		.amdhsa_user_sgpr_dispatch_ptr 0
		.amdhsa_user_sgpr_queue_ptr 0
		.amdhsa_user_sgpr_kernarg_segment_ptr 1
		.amdhsa_user_sgpr_dispatch_id 0
		.amdhsa_user_sgpr_flat_scratch_init 0
		.amdhsa_user_sgpr_private_segment_size 0
		.amdhsa_wavefront_size32 1
		.amdhsa_uses_dynamic_stack 0
		.amdhsa_system_sgpr_private_segment_wavefront_offset 0
		.amdhsa_system_sgpr_workgroup_id_x 1
		.amdhsa_system_sgpr_workgroup_id_y 0
		.amdhsa_system_sgpr_workgroup_id_z 0
		.amdhsa_system_sgpr_workgroup_info 0
		.amdhsa_system_vgpr_workitem_id 0
		.amdhsa_next_free_vgpr 118
		.amdhsa_next_free_sgpr 14
		.amdhsa_reserve_vcc 1
		.amdhsa_reserve_flat_scratch 0
		.amdhsa_float_round_mode_32 0
		.amdhsa_float_round_mode_16_64 0
		.amdhsa_float_denorm_mode_32 3
		.amdhsa_float_denorm_mode_16_64 3
		.amdhsa_dx10_clamp 1
		.amdhsa_ieee_mode 1
		.amdhsa_fp16_overflow 0
		.amdhsa_workgroup_processor_mode 1
		.amdhsa_memory_ordered 1
		.amdhsa_forward_progress 0
		.amdhsa_shared_vgpr_count 0
		.amdhsa_exception_fp_ieee_invalid_op 0
		.amdhsa_exception_fp_denorm_src 0
		.amdhsa_exception_fp_ieee_div_zero 0
		.amdhsa_exception_fp_ieee_overflow 0
		.amdhsa_exception_fp_ieee_underflow 0
		.amdhsa_exception_fp_ieee_inexact 0
		.amdhsa_exception_int_div_zero 0
	.end_amdhsa_kernel
	.text
.Lfunc_end0:
	.size	bluestein_single_back_len24_dim1_dp_op_CI_CI, .Lfunc_end0-bluestein_single_back_len24_dim1_dp_op_CI_CI
                                        ; -- End function
	.section	.AMDGPU.csdata,"",@progbits
; Kernel info:
; codeLenInByte = 4252
; NumSgprs: 16
; NumVgprs: 118
; ScratchSize: 0
; MemoryBound: 0
; FloatMode: 240
; IeeeMode: 1
; LDSByteSize: 12288 bytes/workgroup (compile time only)
; SGPRBlocks: 1
; VGPRBlocks: 14
; NumSGPRsForWavesPerEU: 16
; NumVGPRsForWavesPerEU: 118
; Occupancy: 8
; WaveLimiterHint : 1
; COMPUTE_PGM_RSRC2:SCRATCH_EN: 0
; COMPUTE_PGM_RSRC2:USER_SGPR: 6
; COMPUTE_PGM_RSRC2:TRAP_HANDLER: 0
; COMPUTE_PGM_RSRC2:TGID_X_EN: 1
; COMPUTE_PGM_RSRC2:TGID_Y_EN: 0
; COMPUTE_PGM_RSRC2:TGID_Z_EN: 0
; COMPUTE_PGM_RSRC2:TIDIG_COMP_CNT: 0
	.text
	.p2alignl 6, 3214868480
	.fill 48, 4, 3214868480
	.type	__hip_cuid_d21ad6c84f1353de,@object ; @__hip_cuid_d21ad6c84f1353de
	.section	.bss,"aw",@nobits
	.globl	__hip_cuid_d21ad6c84f1353de
__hip_cuid_d21ad6c84f1353de:
	.byte	0                               ; 0x0
	.size	__hip_cuid_d21ad6c84f1353de, 1

	.ident	"AMD clang version 19.0.0git (https://github.com/RadeonOpenCompute/llvm-project roc-6.4.0 25133 c7fe45cf4b819c5991fe208aaa96edf142730f1d)"
	.section	".note.GNU-stack","",@progbits
	.addrsig
	.addrsig_sym __hip_cuid_d21ad6c84f1353de
	.amdgpu_metadata
---
amdhsa.kernels:
  - .args:
      - .actual_access:  read_only
        .address_space:  global
        .offset:         0
        .size:           8
        .value_kind:     global_buffer
      - .actual_access:  read_only
        .address_space:  global
        .offset:         8
        .size:           8
        .value_kind:     global_buffer
      - .actual_access:  read_only
        .address_space:  global
        .offset:         16
        .size:           8
        .value_kind:     global_buffer
      - .actual_access:  read_only
        .address_space:  global
        .offset:         24
        .size:           8
        .value_kind:     global_buffer
      - .actual_access:  read_only
        .address_space:  global
        .offset:         32
        .size:           8
        .value_kind:     global_buffer
      - .offset:         40
        .size:           8
        .value_kind:     by_value
      - .address_space:  global
        .offset:         48
        .size:           8
        .value_kind:     global_buffer
      - .address_space:  global
        .offset:         56
        .size:           8
        .value_kind:     global_buffer
      - .address_space:  global
        .offset:         64
        .size:           8
        .value_kind:     global_buffer
      - .address_space:  global
        .offset:         72
        .size:           8
        .value_kind:     global_buffer
      - .offset:         80
        .size:           4
        .value_kind:     by_value
      - .address_space:  global
        .offset:         88
        .size:           8
        .value_kind:     global_buffer
      - .address_space:  global
        .offset:         96
        .size:           8
        .value_kind:     global_buffer
    .group_segment_fixed_size: 12288
    .kernarg_segment_align: 8
    .kernarg_segment_size: 104
    .language:       OpenCL C
    .language_version:
      - 2
      - 0
    .max_flat_workgroup_size: 256
    .name:           bluestein_single_back_len24_dim1_dp_op_CI_CI
    .private_segment_fixed_size: 0
    .sgpr_count:     16
    .sgpr_spill_count: 0
    .symbol:         bluestein_single_back_len24_dim1_dp_op_CI_CI.kd
    .uniform_work_group_size: 1
    .uses_dynamic_stack: false
    .vgpr_count:     118
    .vgpr_spill_count: 0
    .wavefront_size: 32
    .workgroup_processor_mode: 1
amdhsa.target:   amdgcn-amd-amdhsa--gfx1030
amdhsa.version:
  - 1
  - 2
...

	.end_amdgpu_metadata
